;; amdgpu-corpus repo=ROCm/rocFFT kind=compiled arch=gfx950 opt=O3
	.text
	.amdgcn_target "amdgcn-amd-amdhsa--gfx950"
	.amdhsa_code_object_version 6
	.protected	fft_rtc_back_len1617_factors_3_7_7_11_wgs_231_tpt_231_sp_ip_CI_unitstride_sbrr_dirReg ; -- Begin function fft_rtc_back_len1617_factors_3_7_7_11_wgs_231_tpt_231_sp_ip_CI_unitstride_sbrr_dirReg
	.globl	fft_rtc_back_len1617_factors_3_7_7_11_wgs_231_tpt_231_sp_ip_CI_unitstride_sbrr_dirReg
	.p2align	8
	.type	fft_rtc_back_len1617_factors_3_7_7_11_wgs_231_tpt_231_sp_ip_CI_unitstride_sbrr_dirReg,@function
fft_rtc_back_len1617_factors_3_7_7_11_wgs_231_tpt_231_sp_ip_CI_unitstride_sbrr_dirReg: ; @fft_rtc_back_len1617_factors_3_7_7_11_wgs_231_tpt_231_sp_ip_CI_unitstride_sbrr_dirReg
; %bb.0:
	s_load_dwordx2 s[8:9], s[0:1], 0x50
	s_load_dwordx4 s[4:7], s[0:1], 0x0
	s_load_dwordx2 s[10:11], s[0:1], 0x18
	v_mul_u32_u24_e32 v1, 0x11c, v0
	v_add_u32_sdwa v6, s2, v1 dst_sel:DWORD dst_unused:UNUSED_PAD src0_sel:DWORD src1_sel:WORD_1
	v_mov_b32_e32 v4, 0
	s_waitcnt lgkmcnt(0)
	v_cmp_lt_u64_e64 s[2:3], s[6:7], 2
	v_mov_b32_e32 v7, v4
	s_and_b64 vcc, exec, s[2:3]
	v_mov_b64_e32 v[2:3], 0
	s_cbranch_vccnz .LBB0_8
; %bb.1:
	s_load_dwordx2 s[2:3], s[0:1], 0x10
	s_add_u32 s12, s10, 8
	s_addc_u32 s13, s11, 0
	s_mov_b64 s[14:15], 1
	v_mov_b64_e32 v[2:3], 0
	s_waitcnt lgkmcnt(0)
	s_add_u32 s16, s2, 8
	s_addc_u32 s17, s3, 0
.LBB0_2:                                ; =>This Inner Loop Header: Depth=1
	s_load_dwordx2 s[18:19], s[16:17], 0x0
                                        ; implicit-def: $vgpr8_vgpr9
	s_waitcnt lgkmcnt(0)
	v_or_b32_e32 v5, s19, v7
	v_cmp_ne_u64_e32 vcc, 0, v[4:5]
	s_and_saveexec_b64 s[2:3], vcc
	s_xor_b64 s[20:21], exec, s[2:3]
	s_cbranch_execz .LBB0_4
; %bb.3:                                ;   in Loop: Header=BB0_2 Depth=1
	v_cvt_f32_u32_e32 v1, s18
	v_cvt_f32_u32_e32 v5, s19
	s_sub_u32 s2, 0, s18
	s_subb_u32 s3, 0, s19
	v_fmac_f32_e32 v1, 0x4f800000, v5
	v_rcp_f32_e32 v1, v1
	s_nop 0
	v_mul_f32_e32 v1, 0x5f7ffffc, v1
	v_mul_f32_e32 v5, 0x2f800000, v1
	v_trunc_f32_e32 v5, v5
	v_fmac_f32_e32 v1, 0xcf800000, v5
	v_cvt_u32_f32_e32 v5, v5
	v_cvt_u32_f32_e32 v1, v1
	v_mul_lo_u32 v8, s2, v5
	v_mul_hi_u32 v10, s2, v1
	v_mul_lo_u32 v9, s3, v1
	v_add_u32_e32 v10, v10, v8
	v_mul_lo_u32 v12, s2, v1
	v_add_u32_e32 v13, v10, v9
	v_mul_hi_u32 v8, v1, v12
	v_mul_hi_u32 v11, v1, v13
	v_mul_lo_u32 v10, v1, v13
	v_mov_b32_e32 v9, v4
	v_lshl_add_u64 v[8:9], v[8:9], 0, v[10:11]
	v_mul_hi_u32 v11, v5, v12
	v_mul_lo_u32 v12, v5, v12
	v_add_co_u32_e32 v8, vcc, v8, v12
	v_mul_hi_u32 v10, v5, v13
	s_nop 0
	v_addc_co_u32_e32 v8, vcc, v9, v11, vcc
	v_mov_b32_e32 v9, v4
	s_nop 0
	v_addc_co_u32_e32 v11, vcc, 0, v10, vcc
	v_mul_lo_u32 v10, v5, v13
	v_lshl_add_u64 v[8:9], v[8:9], 0, v[10:11]
	v_add_co_u32_e32 v1, vcc, v1, v8
	v_mul_lo_u32 v10, s2, v1
	s_nop 0
	v_addc_co_u32_e32 v5, vcc, v5, v9, vcc
	v_mul_lo_u32 v8, s2, v5
	v_mul_hi_u32 v9, s2, v1
	v_add_u32_e32 v8, v9, v8
	v_mul_lo_u32 v9, s3, v1
	v_add_u32_e32 v12, v8, v9
	v_mul_hi_u32 v14, v5, v10
	v_mul_lo_u32 v15, v5, v10
	v_mul_hi_u32 v9, v1, v12
	v_mul_lo_u32 v8, v1, v12
	v_mul_hi_u32 v10, v1, v10
	v_mov_b32_e32 v11, v4
	v_lshl_add_u64 v[8:9], v[10:11], 0, v[8:9]
	v_add_co_u32_e32 v8, vcc, v8, v15
	v_mul_hi_u32 v13, v5, v12
	s_nop 0
	v_addc_co_u32_e32 v8, vcc, v9, v14, vcc
	v_mul_lo_u32 v10, v5, v12
	s_nop 0
	v_addc_co_u32_e32 v11, vcc, 0, v13, vcc
	v_mov_b32_e32 v9, v4
	v_lshl_add_u64 v[8:9], v[8:9], 0, v[10:11]
	v_add_co_u32_e32 v1, vcc, v1, v8
	v_mul_hi_u32 v10, v6, v1
	s_nop 0
	v_addc_co_u32_e32 v5, vcc, v5, v9, vcc
	v_mad_u64_u32 v[8:9], s[2:3], v6, v5, 0
	v_mov_b32_e32 v11, v4
	v_lshl_add_u64 v[8:9], v[10:11], 0, v[8:9]
	v_mad_u64_u32 v[12:13], s[2:3], v7, v1, 0
	v_add_co_u32_e32 v1, vcc, v8, v12
	v_mad_u64_u32 v[10:11], s[2:3], v7, v5, 0
	s_nop 0
	v_addc_co_u32_e32 v8, vcc, v9, v13, vcc
	v_mov_b32_e32 v9, v4
	s_nop 0
	v_addc_co_u32_e32 v11, vcc, 0, v11, vcc
	v_lshl_add_u64 v[8:9], v[8:9], 0, v[10:11]
	v_mul_lo_u32 v1, s19, v8
	v_mul_lo_u32 v5, s18, v9
	v_mad_u64_u32 v[10:11], s[2:3], s18, v8, 0
	v_add3_u32 v1, v11, v5, v1
	v_sub_u32_e32 v5, v7, v1
	v_mov_b32_e32 v11, s19
	v_sub_co_u32_e32 v14, vcc, v6, v10
	v_lshl_add_u64 v[12:13], v[8:9], 0, 1
	s_nop 0
	v_subb_co_u32_e64 v5, s[2:3], v5, v11, vcc
	v_subrev_co_u32_e64 v10, s[2:3], s18, v14
	v_subb_co_u32_e32 v1, vcc, v7, v1, vcc
	s_nop 0
	v_subbrev_co_u32_e64 v5, s[2:3], 0, v5, s[2:3]
	v_cmp_le_u32_e64 s[2:3], s19, v5
	v_cmp_le_u32_e32 vcc, s19, v1
	s_nop 0
	v_cndmask_b32_e64 v11, 0, -1, s[2:3]
	v_cmp_le_u32_e64 s[2:3], s18, v10
	s_nop 1
	v_cndmask_b32_e64 v10, 0, -1, s[2:3]
	v_cmp_eq_u32_e64 s[2:3], s19, v5
	s_nop 1
	v_cndmask_b32_e64 v5, v11, v10, s[2:3]
	v_lshl_add_u64 v[10:11], v[8:9], 0, 2
	v_cmp_ne_u32_e64 s[2:3], 0, v5
	s_nop 1
	v_cndmask_b32_e64 v5, v13, v11, s[2:3]
	v_cndmask_b32_e64 v11, 0, -1, vcc
	v_cmp_le_u32_e32 vcc, s18, v14
	s_nop 1
	v_cndmask_b32_e64 v13, 0, -1, vcc
	v_cmp_eq_u32_e32 vcc, s19, v1
	s_nop 1
	v_cndmask_b32_e32 v1, v11, v13, vcc
	v_cmp_ne_u32_e32 vcc, 0, v1
	v_cndmask_b32_e64 v1, v12, v10, s[2:3]
	s_nop 0
	v_cndmask_b32_e32 v9, v9, v5, vcc
	v_cndmask_b32_e32 v8, v8, v1, vcc
.LBB0_4:                                ;   in Loop: Header=BB0_2 Depth=1
	s_andn2_saveexec_b64 s[2:3], s[20:21]
	s_cbranch_execz .LBB0_6
; %bb.5:                                ;   in Loop: Header=BB0_2 Depth=1
	v_cvt_f32_u32_e32 v1, s18
	s_sub_i32 s20, 0, s18
	v_rcp_iflag_f32_e32 v1, v1
	s_nop 0
	v_mul_f32_e32 v1, 0x4f7ffffe, v1
	v_cvt_u32_f32_e32 v1, v1
	v_mul_lo_u32 v5, s20, v1
	v_mul_hi_u32 v5, v1, v5
	v_add_u32_e32 v1, v1, v5
	v_mul_hi_u32 v1, v6, v1
	v_mul_lo_u32 v5, v1, s18
	v_sub_u32_e32 v5, v6, v5
	v_add_u32_e32 v8, 1, v1
	v_subrev_u32_e32 v9, s18, v5
	v_cmp_le_u32_e32 vcc, s18, v5
	s_nop 1
	v_cndmask_b32_e32 v5, v5, v9, vcc
	v_cndmask_b32_e32 v1, v1, v8, vcc
	v_add_u32_e32 v8, 1, v1
	v_cmp_le_u32_e32 vcc, s18, v5
	v_mov_b32_e32 v9, v4
	s_nop 0
	v_cndmask_b32_e32 v8, v1, v8, vcc
.LBB0_6:                                ;   in Loop: Header=BB0_2 Depth=1
	s_or_b64 exec, exec, s[2:3]
	v_mad_u64_u32 v[10:11], s[2:3], v8, s18, 0
	s_load_dwordx2 s[2:3], s[12:13], 0x0
	v_mul_lo_u32 v1, v9, s18
	v_mul_lo_u32 v5, v8, s19
	v_add3_u32 v1, v11, v5, v1
	v_sub_co_u32_e32 v5, vcc, v6, v10
	s_add_u32 s14, s14, 1
	s_nop 0
	v_subb_co_u32_e32 v1, vcc, v7, v1, vcc
	s_addc_u32 s15, s15, 0
	s_waitcnt lgkmcnt(0)
	v_mul_lo_u32 v1, s2, v1
	v_mul_lo_u32 v6, s3, v5
	v_mad_u64_u32 v[2:3], s[2:3], s2, v5, v[2:3]
	s_add_u32 s12, s12, 8
	v_add3_u32 v3, v6, v3, v1
	s_addc_u32 s13, s13, 0
	v_mov_b64_e32 v[6:7], s[6:7]
	s_add_u32 s16, s16, 8
	v_cmp_ge_u64_e32 vcc, s[14:15], v[6:7]
	s_addc_u32 s17, s17, 0
	s_cbranch_vccnz .LBB0_9
; %bb.7:                                ;   in Loop: Header=BB0_2 Depth=1
	v_mov_b64_e32 v[6:7], v[8:9]
	s_branch .LBB0_2
.LBB0_8:
	v_mov_b64_e32 v[8:9], v[6:7]
.LBB0_9:
	s_lshl_b64 s[2:3], s[6:7], 3
	s_add_u32 s2, s10, s2
	s_addc_u32 s3, s11, s3
	s_load_dwordx2 s[6:7], s[2:3], 0x0
	s_load_dwordx2 s[10:11], s[0:1], 0x20
	s_mov_b32 s2, 0x11bb4a5
                                        ; implicit-def: $vgpr6
                                        ; implicit-def: $vgpr12
                                        ; implicit-def: $vgpr24
                                        ; implicit-def: $vgpr26
                                        ; implicit-def: $vgpr14
                                        ; implicit-def: $vgpr10
                                        ; implicit-def: $vgpr22
	s_waitcnt lgkmcnt(0)
	v_mul_lo_u32 v1, s6, v9
	v_mul_lo_u32 v4, s7, v8
	v_mad_u64_u32 v[2:3], s[0:1], s6, v8, v[2:3]
	v_add3_u32 v3, v4, v3, v1
	v_mul_hi_u32 v1, v0, s2
	v_mul_u32_u24_e32 v1, 0xe7, v1
	v_cmp_gt_u64_e64 s[0:1], s[10:11], v[8:9]
	v_sub_u32_e32 v16, v0, v1
	v_lshl_add_u64 v[18:19], v[2:3], 3, s[8:9]
                                        ; implicit-def: $vgpr0
                                        ; implicit-def: $vgpr4
	s_and_saveexec_b64 s[2:3], s[0:1]
	s_cbranch_execz .LBB0_13
; %bb.10:
	v_mov_b32_e32 v17, 0
	v_lshl_add_u64 v[2:3], v[16:17], 3, v[18:19]
	v_add_co_u32_e32 v0, vcc, 0x1000, v2
	global_load_dwordx2 v[12:13], v[2:3], off
	s_nop 0
	v_addc_co_u32_e32 v1, vcc, 0, v3, vcc
	v_add_co_u32_e32 v4, vcc, 0x2000, v2
	s_movk_i32 s6, 0x4d
	s_nop 0
	v_addc_co_u32_e32 v5, vcc, 0, v3, vcc
	global_load_dwordx2 v[10:11], v[0:1], off offset:2064
	global_load_dwordx2 v[24:25], v[0:1], off offset:216
	;; [unrolled: 1-line block ×5, first 2 shown]
	v_cmp_gt_u32_e32 vcc, s6, v16
                                        ; implicit-def: $vgpr5
                                        ; implicit-def: $vgpr7
                                        ; implicit-def: $vgpr1
	s_and_saveexec_b64 s[6:7], vcc
	s_cbranch_execz .LBB0_12
; %bb.11:
	v_add_co_u32_e32 v8, vcc, 0x1000, v2
	s_nop 1
	v_addc_co_u32_e32 v9, vcc, 0, v3, vcc
	v_add_co_u32_e32 v20, vcc, 0x3000, v2
	s_nop 1
	v_addc_co_u32_e32 v21, vcc, 0, v3, vcc
	global_load_dwordx2 v[0:1], v[2:3], off offset:3696
	global_load_dwordx2 v[4:5], v[8:9], off offset:3912
	;; [unrolled: 1-line block ×3, first 2 shown]
.LBB0_12:
	s_or_b64 exec, exec, s[6:7]
.LBB0_13:
	s_or_b64 exec, exec, s[2:3]
	s_waitcnt vmcnt(0)
	v_pk_add_f32 v[2:3], v[6:7], v[4:5]
	v_pk_add_f32 v[8:9], v[4:5], v[6:7] neg_lo:[0,1] neg_hi:[0,1]
	s_mov_b32 s2, 0x3f5db3d7
	v_pk_add_f32 v[28:29], v[12:13], v[24:25]
	v_pk_add_f32 v[30:31], v[24:25], v[26:27]
	v_pk_add_f32 v[24:25], v[24:25], v[26:27] neg_lo:[0,1] neg_hi:[0,1]
	v_pk_fma_f32 v[2:3], v[2:3], 0.5, v[0:1] op_sel_hi:[1,0,1] neg_lo:[1,0,0] neg_hi:[1,0,0]
	v_pk_mul_f32 v[8:9], v[8:9], s[2:3] op_sel_hi:[1,0]
	v_pk_fma_f32 v[12:13], v[30:31], 0.5, v[12:13] op_sel_hi:[1,0,1] neg_lo:[1,0,0] neg_hi:[1,0,0]
	v_pk_mul_f32 v[24:25], v[24:25], s[2:3] op_sel_hi:[1,0]
	v_pk_add_f32 v[20:21], v[2:3], v[8:9] op_sel:[0,1] op_sel_hi:[1,0] neg_lo:[0,1] neg_hi:[0,1]
	v_pk_add_f32 v[2:3], v[2:3], v[8:9] op_sel:[0,1] op_sel_hi:[1,0]
	v_pk_add_f32 v[28:29], v[28:29], v[26:27]
	v_pk_add_f32 v[26:27], v[12:13], v[24:25] op_sel:[0,1] op_sel_hi:[1,0] neg_lo:[0,1] neg_hi:[0,1]
	v_pk_add_f32 v[12:13], v[12:13], v[24:25] op_sel:[0,1] op_sel_hi:[1,0]
	v_mov_b32_e32 v8, v2
	v_mad_u32_u24 v2, v16, 24, 0
	v_mov_b32_e32 v24, v26
	v_mov_b32_e32 v25, v13
	v_mov_b32_e32 v13, v27
	ds_write2_b64 v2, v[28:29], v[24:25] offset1:1
	ds_write_b64 v2, v[12:13] offset:16
	v_pk_add_f32 v[12:13], v[14:15], v[10:11]
	v_pk_add_f32 v[24:25], v[10:11], v[22:23]
	v_pk_add_f32 v[10:11], v[10:11], v[22:23] neg_lo:[0,1] neg_hi:[0,1]
	v_pk_fma_f32 v[14:15], v[24:25], 0.5, v[14:15] op_sel_hi:[1,0,1] neg_lo:[1,0,0] neg_hi:[1,0,0]
	v_pk_mul_f32 v[10:11], v[10:11], s[2:3] op_sel_hi:[1,0]
	v_pk_add_f32 v[12:13], v[12:13], v[22:23]
	v_pk_add_f32 v[22:23], v[14:15], v[10:11] op_sel:[0,1] op_sel_hi:[1,0] neg_lo:[0,1] neg_hi:[0,1]
	v_pk_add_f32 v[10:11], v[14:15], v[10:11] op_sel:[0,1] op_sel_hi:[1,0]
	s_movk_i32 s2, 0x4d
	v_mov_b32_e32 v9, v21
	v_add_u32_e32 v17, 0x15a8, v2
	v_mov_b32_e32 v14, v22
	v_mov_b32_e32 v15, v11
	;; [unrolled: 1-line block ×3, first 2 shown]
	v_cmp_gt_u32_e32 vcc, s2, v16
	ds_write2_b64 v17, v[12:13], v[14:15] offset1:1
	ds_write_b64 v2, v[10:11] offset:5560
	s_and_saveexec_b64 s[2:3], vcc
	s_cbranch_execz .LBB0_15
; %bb.14:
	v_pk_add_f32 v[0:1], v[4:5], v[0:1]
	v_add_u32_e32 v4, 0x2b50, v2
	v_pk_add_f32 v[0:1], v[6:7], v[0:1]
	v_mov_b32_e32 v21, v3
	ds_write2_b64 v4, v[0:1], v[20:21] offset1:1
	ds_write_b64 v2, v[8:9] offset:11104
.LBB0_15:
	s_or_b64 exec, exec, s[2:3]
	s_movk_i32 s2, 0xab
	v_mul_lo_u16_sdwa v0, v16, s2 dst_sel:DWORD dst_unused:UNUSED_PAD src0_sel:BYTE_0 src1_sel:DWORD
	v_lshrrev_b16_e32 v4, 9, v0
	v_mul_lo_u16_e32 v0, 3, v4
	v_sub_u16_e32 v5, v16, v0
	v_mov_b32_e32 v7, 6
	v_mul_u32_u24_sdwa v0, v5, v7 dst_sel:DWORD dst_unused:UNUSED_PAD src0_sel:BYTE_0 src1_sel:DWORD
	v_lshlrev_b32_e32 v0, 3, v0
	s_waitcnt lgkmcnt(0)
	s_barrier
	global_load_dwordx4 v[10:13], v0, s[4:5] offset:16
	global_load_dwordx4 v[22:25], v0, s[4:5]
	global_load_dwordx4 v[26:29], v0, s[4:5] offset:32
	v_lshlrev_b32_e32 v6, 4, v16
	v_sub_u32_e32 v21, v2, v6
	ds_read2_b64 v[30:33], v21 offset1:231
	v_add_u32_e32 v45, 0xe00, v21
	v_add_u32_e32 v60, 0x1c80, v21
	ds_read_b64 v[0:1], v21 offset:11088
	ds_read2_b64 v[34:37], v45 offset0:14 offset1:245
	ds_read2_b64 v[38:41], v60 offset0:12 offset1:243
	v_mov_b32_e32 v17, 3
	v_mul_u32_u24_e32 v4, 0xa8, v4
	v_lshlrev_b32_sdwa v5, v17, v5 dst_sel:DWORD dst_unused:UNUSED_PAD src0_sel:DWORD src1_sel:BYTE_0
	v_add3_u32 v61, 0, v4, v5
	s_waitcnt lgkmcnt(3)
	v_mov_b32_e32 v4, v33
	s_waitcnt lgkmcnt(2)
	v_mov_b32_e32 v14, v1
	;; [unrolled: 2-line block ×4, first 2 shown]
	s_mov_b32 s8, 0x3f08b237
	s_mov_b32 s16, 0x3d64c772
	;; [unrolled: 1-line block ×12, first 2 shown]
	s_barrier
	s_waitcnt vmcnt(2)
	v_mul_f32_e32 v5, v11, v36
	s_waitcnt vmcnt(1)
	v_pk_mul_f32 v[52:53], v[22:23], v[32:33] op_sel_hi:[1,0]
	v_pk_mul_f32 v[54:55], v[24:25], v[34:35] op_sel_hi:[1,0]
	s_waitcnt vmcnt(0)
	v_pk_mul_f32 v[56:57], v[26:27], v[40:41] op_sel_hi:[1,0]
	v_pk_mul_f32 v[58:59], v[28:29], v[0:1] op_sel_hi:[1,0]
	v_mul_f32_e32 v46, v10, v36
	v_fma_f32 v10, v10, v37, -v5
	v_pk_fma_f32 v[34:35], v[24:25], v[34:35], v[54:55] op_sel:[0,1,1] op_sel_hi:[1,1,0]
	v_pk_fma_f32 v[24:25], v[24:25], v[42:43], v[54:55] op_sel:[0,0,1] op_sel_hi:[1,1,0] neg_lo:[0,0,1] neg_hi:[0,0,1]
	v_pk_fma_f32 v[4:5], v[22:23], v[4:5], v[52:53] op_sel:[0,0,1] op_sel_hi:[1,1,0] neg_lo:[0,0,1] neg_hi:[0,0,1]
	v_pk_fma_f32 v[22:23], v[22:23], v[32:33], v[52:53] op_sel:[0,1,1] op_sel_hi:[1,1,0]
	v_pk_fma_f32 v[32:33], v[26:27], v[44:45], v[56:57] op_sel:[0,0,1] op_sel_hi:[1,1,0] neg_lo:[0,0,1] neg_hi:[0,0,1]
	v_pk_fma_f32 v[26:27], v[26:27], v[40:41], v[56:57] op_sel:[0,1,1] op_sel_hi:[1,1,0]
	;; [unrolled: 2-line block ×3, first 2 shown]
	v_mul_f32_e32 v48, v11, v37
	v_mul_f32_e32 v36, v12, v38
	;; [unrolled: 1-line block ×3, first 2 shown]
	v_mov_b32_e32 v5, v23
	v_mov_b32_e32 v25, v35
	;; [unrolled: 1-line block ×8, first 2 shown]
	v_mul_f32_e32 v11, v13, v38
	v_pk_add_f32 v[26:27], v[4:5], v[14:15]
	v_pk_add_f32 v[4:5], v[4:5], v[14:15] neg_lo:[0,1] neg_hi:[0,1]
	v_pk_add_f32 v[14:15], v[24:25], v[32:33]
	v_pk_add_f32 v[24:25], v[24:25], v[32:33] neg_lo:[0,1] neg_hi:[0,1]
	v_pk_add_f32 v[28:29], v[36:37], v[50:51]
	v_pk_add_f32 v[32:33], v[46:47], v[48:49]
	v_fma_f32 v12, v12, v39, -v11
	v_mov_b32_e32 v13, v28
	v_mov_b32_e32 v11, v32
	;; [unrolled: 1-line block ×6, first 2 shown]
	v_pk_add_f32 v[10:11], v[12:13], v[10:11] neg_lo:[0,1] neg_hi:[0,1]
	v_mov_b32_e32 v35, v5
	v_mov_b32_e32 v36, v24
	;; [unrolled: 1-line block ×4, first 2 shown]
	v_pk_add_f32 v[42:43], v[32:33], v[28:29]
	v_pk_add_f32 v[0:1], v[0:1], v[22:23]
	v_mov_b32_e32 v34, v10
	v_mov_b32_e32 v37, v11
	;; [unrolled: 1-line block ×5, first 2 shown]
	v_pk_add_f32 v[12:13], v[34:35], v[36:37] neg_lo:[0,1] neg_hi:[0,1]
	v_pk_add_f32 v[22:23], v[38:39], v[40:41] neg_lo:[0,1] neg_hi:[0,1]
	v_mov_b32_e32 v36, v15
	v_mov_b32_e32 v37, v1
	;; [unrolled: 1-line block ×5, first 2 shown]
	v_pk_add_f32 v[36:37], v[28:29], v[36:37] neg_lo:[0,1] neg_hi:[0,1]
	v_pk_add_f32 v[38:39], v[38:39], v[32:33] neg_lo:[0,1] neg_hi:[0,1]
	v_pk_add_f32 v[10:11], v[10:11], v[24:25]
	v_pk_mul_f32 v[12:13], v[12:13], s[8:9]
	v_pk_mul_f32 v[34:35], v[22:23], s[6:7]
	v_pk_add_f32 v[0:1], v[0:1], v[42:43]
	v_pk_mul_f32 v[36:37], v[36:37], s[16:17]
	v_pk_mul_f32 v[40:41], v[38:39], s[18:19]
	v_mov_b32_e32 v32, v15
	v_mov_b32_e32 v28, v27
	v_pk_add_f32 v[10:11], v[10:11], v[4:5]
	v_pk_add_f32 v[30:31], v[0:1], v[30:31]
	v_pk_fma_f32 v[38:39], v[38:39], s[18:19], v[36:37]
	v_pk_fma_f32 v[22:23], v[22:23], s[6:7], v[12:13]
	v_pk_add_f32 v[4:5], v[24:25], v[4:5] neg_lo:[0,1] neg_hi:[0,1]
	v_pk_add_f32 v[14:15], v[32:33], v[28:29] neg_lo:[0,1] neg_hi:[0,1]
	v_mov_b32_e32 v24, v40
	v_mov_b32_e32 v25, v37
	;; [unrolled: 1-line block ×6, first 2 shown]
	v_pk_fma_f32 v[0:1], v[0:1], s[14:15], v[30:31] op_sel_hi:[1,0,1] neg_lo:[1,0,0] neg_hi:[1,0,0]
	v_pk_fma_f32 v[24:25], v[14:15], s[12:13], v[24:25] op_sel_hi:[1,0,1] neg_lo:[1,0,1] neg_hi:[1,0,1]
	;; [unrolled: 1-line block ×5, first 2 shown]
	v_pk_add_f32 v[38:39], v[38:39], v[0:1]
	v_pk_add_f32 v[24:25], v[24:25], v[0:1]
	v_pk_fma_f32 v[26:27], v[10:11], s[2:3], v[26:27] op_sel_hi:[1,0,1]
	v_pk_add_f32 v[0:1], v[14:15], v[0:1]
	v_pk_fma_f32 v[4:5], v[10:11], s[2:3], v[4:5] op_sel_hi:[1,0,1]
	v_pk_fma_f32 v[22:23], v[10:11], s[2:3], v[22:23] op_sel_hi:[1,0,1]
	v_pk_add_f32 v[28:29], v[24:25], v[26:27]
	v_pk_add_f32 v[24:25], v[24:25], v[26:27] neg_lo:[0,1] neg_hi:[0,1]
	v_pk_add_f32 v[10:11], v[0:1], v[4:5] neg_lo:[0,1] neg_hi:[0,1]
	v_pk_add_f32 v[0:1], v[0:1], v[4:5]
	v_mov_b32_e32 v27, v25
	v_mov_b32_e32 v5, v1
	;; [unrolled: 1-line block ×4, first 2 shown]
	s_movk_i32 s3, 0x87
	ds_write2_b64 v61, v[0:1], v[24:25] offset0:12 offset1:15
	v_mul_lo_u16_sdwa v0, v16, s3 dst_sel:DWORD dst_unused:UNUSED_PAD src0_sel:BYTE_0 src1_sel:DWORD
	v_sub_u16_sdwa v1, v16, v0 dst_sel:DWORD dst_unused:UNUSED_PAD src0_sel:DWORD src1_sel:BYTE_1
	v_lshrrev_b16_e32 v1, 1, v1
	v_and_b32_e32 v1, 0x7f, v1
	v_add_u16_sdwa v0, v1, v0 dst_sel:DWORD dst_unused:UNUSED_PAD src0_sel:DWORD src1_sel:BYTE_1
	v_mov_b32_e32 v26, v28
	v_mov_b32_e32 v4, v10
	v_lshrrev_b16_e32 v0, 4, v0
	ds_write2_b64 v61, v[26:27], v[4:5] offset0:6 offset1:9
	v_and_b32_e32 v5, 15, v0
	v_mul_lo_u16_e32 v0, 21, v5
	v_sub_u16_e32 v15, v16, v0
	v_pk_add_f32 v[42:43], v[38:39], v[22:23]
	v_pk_add_f32 v[22:23], v[38:39], v[22:23] neg_lo:[0,1] neg_hi:[0,1]
	v_mul_u32_u24_sdwa v0, v15, v7 dst_sel:DWORD dst_unused:UNUSED_PAD src0_sel:BYTE_0 src1_sel:DWORD
	v_mov_b32_e32 v38, v42
	v_mov_b32_e32 v39, v23
	;; [unrolled: 1-line block ×3, first 2 shown]
	v_lshlrev_b32_e32 v0, 3, v0
	ds_write2_b64 v61, v[30:31], v[38:39] offset1:3
	ds_write_b64 v61, v[22:23] offset:144
	s_waitcnt lgkmcnt(0)
	s_barrier
	global_load_dwordx4 v[10:13], v0, s[4:5] offset:160
	global_load_dwordx4 v[22:25], v0, s[4:5] offset:144
	;; [unrolled: 1-line block ×3, first 2 shown]
	ds_read2_b64 v[30:33], v45 offset0:14 offset1:245
	ds_read2_b64 v[34:37], v21 offset1:231
	ds_read2_b64 v[38:41], v60 offset0:12 offset1:243
	ds_read_b64 v[0:1], v21 offset:11088
	s_movk_i32 s3, 0x498
	v_mul_u32_u24_sdwa v5, v5, s3 dst_sel:DWORD dst_unused:UNUSED_PAD src0_sel:WORD_0 src1_sel:DWORD
	s_waitcnt lgkmcnt(0)
	s_barrier
	s_waitcnt vmcnt(2)
	v_mul_f32_e32 v7, v11, v32
	v_mul_f32_e32 v4, v10, v32
	;; [unrolled: 1-line block ×3, first 2 shown]
	v_fma_f32 v10, v10, v33, -v7
	v_mul_f32_e32 v7, v13, v38
	v_mov_b32_e32 v38, v37
	s_waitcnt vmcnt(1)
	v_pk_mul_f32 v[44:45], v[22:23], v[36:37] op_sel_hi:[1,0]
	v_mul_f32_e32 v42, v13, v39
	v_fma_f32 v12, v12, v39, -v7
	v_pk_fma_f32 v[38:39], v[22:23], v[38:39], v[44:45] op_sel:[0,0,1] op_sel_hi:[1,1,0] neg_lo:[0,0,1] neg_hi:[0,0,1]
	v_pk_fma_f32 v[22:23], v[22:23], v[36:37], v[44:45] op_sel:[0,1,1] op_sel_hi:[1,1,0]
	v_pk_mul_f32 v[36:37], v[24:25], v[30:31] op_sel_hi:[1,0]
	v_mov_b32_e32 v22, v31
	v_mov_b32_e32 v39, v23
	v_pk_fma_f32 v[22:23], v[24:25], v[22:23], v[36:37] op_sel:[0,0,1] op_sel_hi:[1,1,0] neg_lo:[0,0,1] neg_hi:[0,0,1]
	v_pk_fma_f32 v[24:25], v[24:25], v[30:31], v[36:37] op_sel:[0,1,1] op_sel_hi:[1,1,0]
	s_waitcnt vmcnt(0)
	v_pk_mul_f32 v[30:31], v[26:27], v[40:41] op_sel_hi:[1,0]
	v_mov_b32_e32 v24, v41
	v_mov_b32_e32 v23, v25
	v_pk_fma_f32 v[24:25], v[26:27], v[24:25], v[30:31] op_sel:[0,0,1] op_sel_hi:[1,1,0] neg_lo:[0,0,1] neg_hi:[0,0,1]
	v_pk_fma_f32 v[26:27], v[26:27], v[40:41], v[30:31] op_sel:[0,1,1] op_sel_hi:[1,1,0]
	v_pk_mul_f32 v[30:31], v[28:29], v[0:1] op_sel_hi:[1,0]
	v_mov_b32_e32 v26, v1
	v_lshlrev_b32_sdwa v7, v17, v15 dst_sel:DWORD dst_unused:UNUSED_PAD src0_sel:DWORD src1_sel:BYTE_0
	v_mov_b32_e32 v25, v27
	v_pk_fma_f32 v[26:27], v[28:29], v[26:27], v[30:31] op_sel:[0,0,1] op_sel_hi:[1,1,0] neg_lo:[0,0,1] neg_hi:[0,0,1]
	v_pk_fma_f32 v[0:1], v[28:29], v[0:1], v[30:31] op_sel:[0,1,1] op_sel_hi:[1,1,0]
	v_mul_f32_e32 v14, v11, v33
	v_add3_u32 v7, 0, v5, v7
	v_mov_b32_e32 v27, v1
	v_mov_b32_e32 v33, v38
	;; [unrolled: 1-line block ×5, first 2 shown]
	v_pk_add_f32 v[28:29], v[38:39], v[26:27]
	v_pk_add_f32 v[30:31], v[38:39], v[26:27] neg_lo:[0,1] neg_hi:[0,1]
	v_pk_add_f32 v[26:27], v[32:33], v[42:43]
	v_pk_add_f32 v[14:15], v[4:5], v[14:15]
	v_mov_b32_e32 v13, v26
	v_mov_b32_e32 v11, v14
	v_pk_add_f32 v[40:41], v[22:23], v[24:25] neg_lo:[0,1] neg_hi:[0,1]
	v_pk_add_f32 v[0:1], v[12:13], v[10:11] neg_lo:[0,1] neg_hi:[0,1]
	v_pk_add_f32 v[36:37], v[22:23], v[24:25]
	v_mov_b32_e32 v4, v0
	v_mov_b32_e32 v5, v31
	;; [unrolled: 1-line block ×4, first 2 shown]
	v_pk_add_f32 v[4:5], v[4:5], v[22:23] neg_lo:[0,1] neg_hi:[0,1]
	v_mov_b32_e32 v22, v0
	v_pk_mul_f32 v[24:25], v[4:5], s[8:9]
	v_mov_b32_e32 v4, v30
	v_mov_b32_e32 v5, v1
	;; [unrolled: 1-line block ×3, first 2 shown]
	v_pk_add_f32 v[0:1], v[0:1], v[40:41]
	v_pk_add_f32 v[22:23], v[4:5], v[22:23] neg_lo:[0,1] neg_hi:[0,1]
	v_pk_add_f32 v[38:39], v[0:1], v[30:31]
	v_mov_b32_e32 v0, v37
	v_mov_b32_e32 v1, v10
	;; [unrolled: 1-line block ×4, first 2 shown]
	v_pk_add_f32 v[0:1], v[0:1], v[4:5]
	v_pk_add_f32 v[4:5], v[14:15], v[26:27]
	v_mov_b32_e32 v10, v37
	v_mov_b32_e32 v26, v4
	v_mov_b32_e32 v11, v1
	v_pk_add_f32 v[10:11], v[26:27], v[10:11] neg_lo:[0,1] neg_hi:[0,1]
	v_mov_b32_e32 v12, v29
	v_mov_b32_e32 v13, v1
	;; [unrolled: 1-line block ×3, first 2 shown]
	v_pk_add_f32 v[0:1], v[0:1], v[4:5]
	v_pk_add_f32 v[12:13], v[12:13], v[14:15] neg_lo:[0,1] neg_hi:[0,1]
	v_pk_add_f32 v[4:5], v[0:1], v[34:35]
	v_pk_mul_f32 v[10:11], v[10:11], s[16:17]
	v_pk_mul_f32 v[34:35], v[12:13], s[18:19]
	v_pk_fma_f32 v[42:43], v[0:1], s[14:15], v[4:5] op_sel_hi:[1,0,1] neg_lo:[1,0,0] neg_hi:[1,0,0]
	v_pk_fma_f32 v[0:1], v[12:13], s[18:19], v[10:11]
	v_pk_fma_f32 v[12:13], v[22:23], s[6:7], v[24:25]
	v_pk_mul_f32 v[32:33], v[22:23], s[6:7]
	v_pk_add_f32 v[22:23], v[0:1], v[42:43]
	v_pk_fma_f32 v[12:13], v[38:39], s[2:3], v[12:13] op_sel_hi:[1,0,1]
	v_mov_b32_e32 v14, v37
	v_pk_add_f32 v[0:1], v[22:23], v[12:13]
	v_pk_add_f32 v[22:23], v[22:23], v[12:13] neg_lo:[0,1] neg_hi:[0,1]
	v_mov_b32_e32 v12, v0
	v_mov_b32_e32 v13, v23
	v_mov_b32_e32 v26, v29
	ds_write2_b64 v7, v[4:5], v[12:13] offset1:21
	v_pk_add_f32 v[12:13], v[40:41], v[30:31] neg_lo:[0,1] neg_hi:[0,1]
	v_pk_add_f32 v[28:29], v[14:15], v[26:27] neg_lo:[0,1] neg_hi:[0,1]
	v_mov_b32_e32 v14, v34
	v_mov_b32_e32 v15, v11
	;; [unrolled: 1-line block ×6, first 2 shown]
	v_pk_fma_f32 v[14:15], v[28:29], s[12:13], v[14:15] op_sel_hi:[1,0,1] neg_lo:[1,0,1] neg_hi:[1,0,1]
	v_pk_fma_f32 v[26:27], v[12:13], s[10:11], v[26:27] op_sel_hi:[1,0,1] neg_lo:[1,0,1] neg_hi:[1,0,1]
	;; [unrolled: 1-line block ×4, first 2 shown]
	v_pk_add_f32 v[30:31], v[14:15], v[42:43]
	v_pk_fma_f32 v[26:27], v[38:39], s[2:3], v[26:27] op_sel_hi:[1,0,1]
	v_pk_add_f32 v[10:11], v[10:11], v[42:43]
	v_pk_fma_f32 v[24:25], v[38:39], s[2:3], v[12:13] op_sel_hi:[1,0,1]
	v_pk_add_f32 v[14:15], v[30:31], v[26:27]
	v_pk_add_f32 v[26:27], v[30:31], v[26:27] neg_lo:[0,1] neg_hi:[0,1]
	v_pk_add_f32 v[12:13], v[10:11], v[24:25] neg_lo:[0,1] neg_hi:[0,1]
	v_pk_add_f32 v[28:29], v[10:11], v[24:25]
	v_mov_b32_e32 v30, v14
	v_mov_b32_e32 v31, v27
	;; [unrolled: 1-line block ×4, first 2 shown]
	ds_write2_b64 v7, v[30:31], v[10:11] offset0:42 offset1:63
	v_mov_b32_e32 v10, v28
	v_mov_b32_e32 v11, v13
	;; [unrolled: 1-line block ×4, first 2 shown]
	s_movk_i32 s2, 0x93
	ds_write2_b64 v7, v[10:11], v[24:25] offset0:84 offset1:105
	v_mov_b32_e32 v10, v22
	v_mov_b32_e32 v11, v1
	v_cmp_gt_u32_e32 vcc, s2, v16
	ds_write_b64 v7, v[10:11] offset:1008
	s_waitcnt lgkmcnt(0)
	s_barrier
	s_waitcnt lgkmcnt(0)
                                        ; implicit-def: $vgpr24
	s_and_saveexec_b64 s[2:3], vcc
	s_cbranch_execnz .LBB0_18
; %bb.16:
	s_or_b64 exec, exec, s[2:3]
	s_and_b64 s[0:1], s[0:1], vcc
	s_and_saveexec_b64 s[2:3], s[0:1]
	s_cbranch_execnz .LBB0_19
.LBB0_17:
	s_endpgm
.LBB0_18:
	v_sub_u32_e32 v0, 0, v6
	v_add_u32_e32 v17, v2, v0
	v_add_u32_e32 v0, 0x800, v17
	ds_read2_b64 v[30:33], v0 offset0:38 offset1:185
	v_add_u32_e32 v8, 0x1000, v17
	v_add_u32_e32 v0, 0x1a00, v17
	ds_read2_b64 v[4:7], v17 offset1:147
	ds_read2_b64 v[0:3], v0 offset0:50 offset1:197
	ds_read2_b64 v[12:15], v8 offset0:76 offset1:223
	v_add_u32_e32 v8, 0x2400, v17
	ds_read2_b64 v[8:11], v8 offset0:24 offset1:171
	ds_read_b64 v[24:25], v17 offset:11760
	s_waitcnt lgkmcnt(5)
	v_mov_b32_e32 v29, v33
	s_waitcnt lgkmcnt(3)
	v_mov_b32_e32 v20, v2
	v_mov_b32_e32 v22, v0
	s_waitcnt lgkmcnt(2)
	v_mov_b32_e32 v26, v14
	v_mov_b32_e32 v28, v12
	;; [unrolled: 1-line block ×7, first 2 shown]
	s_or_b64 exec, exec, s[2:3]
	s_and_b64 s[0:1], s[0:1], vcc
	s_and_saveexec_b64 s[2:3], s[0:1]
	s_cbranch_execz .LBB0_17
.LBB0_19:
	v_mul_u32_u24_e32 v2, 10, v16
	v_lshlrev_b32_e32 v2, 3, v2
	global_load_dwordx4 v[30:33], v2, s[4:5] offset:1216
	global_load_dwordx4 v[34:37], v2, s[4:5] offset:1200
	;; [unrolled: 1-line block ×5, first 2 shown]
	s_waitcnt lgkmcnt(0)
	v_mov_b32_e32 v2, v25
	v_mov_b32_e32 v6, v11
	;; [unrolled: 1-line block ×9, first 2 shown]
	s_mov_b32 s4, 0xbf4178ce
	s_mov_b32 s0, 0xbf27a4f4
	;; [unrolled: 1-line block ×13, first 2 shown]
	s_waitcnt vmcnt(4)
	v_pk_mul_f32 v[2:3], v[2:3], v[32:33] op_sel_hi:[0,1]
	v_pk_mul_f32 v[62:63], v[6:7], v[30:31] op_sel_hi:[0,1]
	v_pk_fma_f32 v[6:7], v[24:25], v[32:33], v[2:3] op_sel:[0,0,1] op_sel_hi:[1,1,0]
	v_pk_fma_f32 v[32:33], v[24:25], v[32:33], v[2:3] op_sel:[0,0,1] op_sel_hi:[0,1,0] neg_lo:[1,0,0] neg_hi:[1,0,0]
	s_waitcnt vmcnt(3)
	v_pk_mul_f32 v[2:3], v[54:55], v[36:37] op_sel_hi:[0,1]
	v_pk_fma_f32 v[24:25], v[10:11], v[30:31], v[62:63] op_sel:[0,0,1] op_sel_hi:[1,1,0]
	v_pk_fma_f32 v[30:31], v[10:11], v[30:31], v[62:63] op_sel:[0,0,1] op_sel_hi:[0,1,0] neg_lo:[1,0,0] neg_hi:[1,0,0]
	v_pk_fma_f32 v[10:11], v[8:9], v[36:37], v[2:3] op_sel:[0,0,1] op_sel_hi:[1,1,0]
	v_pk_fma_f32 v[36:37], v[8:9], v[36:37], v[2:3] op_sel:[0,0,1] op_sel_hi:[0,1,0] neg_lo:[1,0,0] neg_hi:[1,0,0]
	v_mov_b32_e32 v36, v23
	v_lshl_add_u64 v[2:3], v[16:17], 3, v[18:19]
	v_pk_mul_f32 v[16:17], v[56:57], v[34:35] op_sel_hi:[0,1]
	s_waitcnt vmcnt(2)
	v_pk_mul_f32 v[18:19], v[58:59], v[38:39] op_sel_hi:[0,1]
	v_pk_mul_f32 v[54:55], v[60:61], v[40:41] op_sel_hi:[0,1]
	s_waitcnt vmcnt(1)
	v_pk_mul_f32 v[56:57], v[36:37], v[42:43] op_sel_hi:[0,1]
	v_mov_b32_e32 v30, v15
	v_mov_b32_e32 v32, v1
	v_pk_fma_f32 v[8:9], v[20:21], v[34:35], v[16:17] op_sel:[0,0,1] op_sel_hi:[1,1,0]
	v_pk_fma_f32 v[16:17], v[20:21], v[34:35], v[16:17] op_sel:[0,0,1] op_sel_hi:[0,1,0] neg_lo:[1,0,0] neg_hi:[1,0,0]
	v_pk_mul_f32 v[14:15], v[14:15], v[44:45] op_sel_hi:[0,1]
	v_mov_b32_e32 v20, v45
	v_mov_b32_e32 v21, v44
	v_pk_fma_f32 v[58:59], v[28:29], v[40:41], v[54:55] op_sel:[0,0,1] op_sel_hi:[1,1,0]
	v_pk_fma_f32 v[28:29], v[28:29], v[40:41], v[54:55] op_sel:[0,0,1] op_sel_hi:[0,1,0] neg_lo:[1,0,0] neg_hi:[1,0,0]
	v_pk_fma_f32 v[40:41], v[12:13], v[38:39], v[18:19] op_sel:[0,0,1] op_sel_hi:[1,1,0]
	v_pk_fma_f32 v[12:13], v[12:13], v[38:39], v[18:19] op_sel:[0,0,1] op_sel_hi:[0,1,0] neg_lo:[1,0,0] neg_hi:[1,0,0]
	;; [unrolled: 2-line block ×3, first 2 shown]
	v_pk_fma_f32 v[18:19], v[50:51], v[20:21], v[14:15]
	v_pk_fma_f32 v[14:15], v[52:53], v[20:21], v[14:15] op_sel_hi:[0,1,1] neg_lo:[0,0,1] neg_hi:[0,0,1]
	v_mov_b32_e32 v7, v33
	v_mov_b32_e32 v39, v1
	;; [unrolled: 1-line block ×5, first 2 shown]
	v_pk_add_f32 v[12:13], v[38:39], v[6:7] neg_lo:[0,1] neg_hi:[0,1]
	s_waitcnt vmcnt(0)
	v_pk_mul_f32 v[34:35], v[30:31], v[46:47] op_sel_hi:[0,1]
	v_pk_mul_f32 v[44:45], v[32:33], v[48:49] op_sel_hi:[0,1]
	v_mov_b32_e32 v9, v17
	v_pk_add_f32 v[0:1], v[6:7], v[38:39]
	v_pk_add_f32 v[16:17], v[18:19], v[24:25] neg_lo:[0,1] neg_hi:[0,1]
	v_pk_mul_f32 v[32:33], v[12:13], s[4:5] op_sel_hi:[1,0]
	v_pk_fma_f32 v[20:21], v[26:27], v[46:47], v[34:35] op_sel:[0,0,1] op_sel_hi:[1,1,0]
	v_pk_fma_f32 v[26:27], v[26:27], v[46:47], v[34:35] op_sel:[0,0,1] op_sel_hi:[0,1,0] neg_lo:[1,0,0] neg_hi:[1,0,0]
	v_pk_fma_f32 v[34:35], v[22:23], v[48:49], v[44:45] op_sel:[0,0,1] op_sel_hi:[1,1,0]
	v_pk_fma_f32 v[22:23], v[22:23], v[48:49], v[44:45] op_sel:[0,0,1] op_sel_hi:[0,1,0] neg_lo:[1,0,0] neg_hi:[1,0,0]
	v_mov_b32_e32 v11, v37
	v_pk_add_f32 v[14:15], v[24:25], v[18:19]
	v_pk_mul_f32 v[36:37], v[16:17], s[12:13] op_sel_hi:[1,0]
	v_pk_fma_f32 v[44:45], v[0:1], s[0:1], v[32:33] op_sel:[0,0,1] op_sel_hi:[1,0,0]
	v_pk_fma_f32 v[32:33], v[0:1], s[0:1], v[32:33] op_sel:[0,0,1] op_sel_hi:[1,0,0] neg_lo:[0,0,1] neg_hi:[0,0,1]
	v_mov_b32_e32 v21, v27
	v_pk_add_f32 v[26:27], v[40:41], v[10:11] neg_lo:[0,1] neg_hi:[0,1]
	v_pk_fma_f32 v[46:47], v[14:15], s[8:9], v[36:37] op_sel:[0,0,1] op_sel_hi:[1,0,0]
	v_pk_fma_f32 v[36:37], v[14:15], s[8:9], v[36:37] op_sel:[0,0,1] op_sel_hi:[1,0,0] neg_lo:[0,0,1] neg_hi:[0,0,1]
	v_mov_b32_e32 v48, v44
	v_mov_b32_e32 v49, v33
	;; [unrolled: 1-line block ×3, first 2 shown]
	v_pk_add_f32 v[22:23], v[10:11], v[40:41]
	v_pk_mul_f32 v[42:43], v[26:27], s[6:7] op_sel_hi:[1,0]
	v_mov_b32_e32 v50, v46
	v_mov_b32_e32 v51, v37
	v_pk_add_f32 v[48:49], v[4:5], v[48:49]
	v_mov_b32_e32 v59, v29
	v_pk_add_f32 v[48:49], v[48:49], v[50:51]
	v_pk_fma_f32 v[50:51], v[22:23], s[2:3], v[42:43] op_sel:[0,0,1] op_sel_hi:[1,0,0]
	v_pk_fma_f32 v[42:43], v[22:23], s[2:3], v[42:43] op_sel:[0,0,1] op_sel_hi:[1,0,0] neg_lo:[0,0,1] neg_hi:[0,0,1]
	v_pk_add_f32 v[30:31], v[58:59], v[8:9] neg_lo:[0,1] neg_hi:[0,1]
	v_mov_b32_e32 v52, v50
	v_mov_b32_e32 v53, v43
	v_pk_add_f32 v[28:29], v[8:9], v[58:59]
	v_pk_add_f32 v[48:49], v[48:49], v[52:53]
	v_pk_mul_f32 v[52:53], v[30:31], s[14:15] op_sel_hi:[1,0]
	v_pk_add_f32 v[60:61], v[20:21], v[34:35] neg_lo:[0,1] neg_hi:[0,1]
	v_pk_fma_f32 v[54:55], v[28:29], s[10:11], v[52:53] op_sel:[0,0,1] op_sel_hi:[1,0,0]
	v_pk_fma_f32 v[52:53], v[28:29], s[10:11], v[52:53] op_sel:[0,0,1] op_sel_hi:[1,0,0] neg_lo:[0,0,1] neg_hi:[0,0,1]
	v_mov_b32_e32 v56, v54
	v_mov_b32_e32 v57, v53
	v_pk_add_f32 v[48:49], v[48:49], v[56:57]
	v_pk_add_f32 v[56:57], v[34:35], v[20:21]
	v_pk_mul_f32 v[62:63], v[60:61], s[18:19] op_sel_hi:[1,0]
	s_movk_i32 s1, 0x1000
	v_pk_fma_f32 v[64:65], v[56:57], s[16:17], v[62:63] op_sel:[0,0,1] op_sel_hi:[1,0,0]
	v_pk_fma_f32 v[62:63], v[56:57], s[16:17], v[62:63] op_sel:[0,0,1] op_sel_hi:[1,0,0] neg_lo:[0,0,1] neg_hi:[0,0,1]
	v_mov_b32_e32 v66, v64
	v_mov_b32_e32 v67, v63
	v_pk_add_f32 v[48:49], v[48:49], v[66:67]
	v_add_co_u32_e32 v66, vcc, s1, v2
	v_pk_mul_f32 v[72:73], v[16:17], s[20:21] op_sel_hi:[1,0]
	s_nop 0
	v_addc_co_u32_e32 v67, vcc, 0, v3, vcc
	global_store_dwordx2 v[66:67], v[48:49], off offset:608
	v_pk_mul_f32 v[48:49], v[12:13], s[14:15] op_sel_hi:[1,0]
	v_pk_fma_f32 v[74:75], v[14:15], s[2:3], v[72:73] op_sel:[0,0,1] op_sel_hi:[1,0,0]
	v_pk_fma_f32 v[68:69], v[0:1], s[10:11], v[48:49] op_sel:[0,0,1] op_sel_hi:[1,0,0]
	v_pk_fma_f32 v[48:49], v[0:1], s[10:11], v[48:49] op_sel:[0,0,1] op_sel_hi:[1,0,0] neg_lo:[0,0,1] neg_hi:[0,0,1]
	v_mov_b32_e32 v70, v68
	v_mov_b32_e32 v71, v49
	v_pk_fma_f32 v[72:73], v[14:15], s[2:3], v[72:73] op_sel:[0,0,1] op_sel_hi:[1,0,0] neg_lo:[0,0,1] neg_hi:[0,0,1]
	v_pk_add_f32 v[70:71], v[4:5], v[70:71]
	v_mov_b32_e32 v76, v74
	v_mov_b32_e32 v77, v73
	v_pk_add_f32 v[70:71], v[70:71], v[76:77]
	v_pk_mul_f32 v[76:77], v[26:27], s[4:5] op_sel_hi:[1,0]
	v_mov_b32_e32 v49, v69
	v_pk_fma_f32 v[78:79], v[22:23], s[0:1], v[76:77] op_sel:[0,0,1] op_sel_hi:[1,0,0]
	v_pk_fma_f32 v[76:77], v[22:23], s[0:1], v[76:77] op_sel:[0,0,1] op_sel_hi:[1,0,0] neg_lo:[0,0,1] neg_hi:[0,0,1]
	v_mov_b32_e32 v80, v78
	v_mov_b32_e32 v81, v77
	v_pk_add_f32 v[70:71], v[70:71], v[80:81]
	v_pk_mul_f32 v[80:81], v[30:31], s[18:19] op_sel_hi:[1,0]
	v_mov_b32_e32 v73, v75
	v_pk_fma_f32 v[82:83], v[28:29], s[16:17], v[80:81] op_sel:[0,0,1] op_sel_hi:[1,0,0]
	v_pk_fma_f32 v[80:81], v[28:29], s[16:17], v[80:81] op_sel:[0,0,1] op_sel_hi:[1,0,0] neg_lo:[0,0,1] neg_hi:[0,0,1]
	v_mov_b32_e32 v84, v82
	v_mov_b32_e32 v85, v81
	v_pk_add_f32 v[48:49], v[4:5], v[48:49]
	v_pk_add_f32 v[70:71], v[70:71], v[84:85]
	v_pk_mul_f32 v[84:85], v[60:61], s[22:23] op_sel_hi:[1,0]
	v_pk_add_f32 v[48:49], v[48:49], v[72:73]
	v_mov_b32_e32 v77, v79
	v_pk_fma_f32 v[86:87], v[56:57], s[8:9], v[84:85] op_sel:[0,0,1] op_sel_hi:[1,0,0]
	v_pk_fma_f32 v[84:85], v[56:57], s[8:9], v[84:85] op_sel:[0,0,1] op_sel_hi:[1,0,0] neg_lo:[0,0,1] neg_hi:[0,0,1]
	v_pk_add_f32 v[48:49], v[48:49], v[76:77]
	v_mov_b32_e32 v81, v83
	v_mov_b32_e32 v89, v85
	v_pk_add_f32 v[48:49], v[48:49], v[80:81]
	v_mov_b32_e32 v85, v87
	v_mov_b32_e32 v88, v86
	v_pk_add_f32 v[48:49], v[48:49], v[84:85]
	v_pk_add_f32 v[70:71], v[70:71], v[88:89]
	global_store_dwordx2 v[66:67], v[48:49], off offset:2960
	v_pk_mul_f32 v[48:49], v[12:13], s[6:7] op_sel_hi:[1,0]
	global_store_dwordx2 v[66:67], v[70:71], off offset:1784
	v_pk_fma_f32 v[66:67], v[0:1], s[2:3], v[48:49] op_sel:[0,0,1] op_sel_hi:[1,0,0]
	v_pk_fma_f32 v[48:49], v[0:1], s[2:3], v[48:49] op_sel:[0,0,1] op_sel_hi:[1,0,0] neg_lo:[0,0,1] neg_hi:[0,0,1]
	v_pk_mul_f32 v[70:71], v[16:17], s[24:25] op_sel_hi:[1,0]
	v_mov_b32_e32 v68, v66
	v_mov_b32_e32 v69, v49
	v_pk_fma_f32 v[72:73], v[14:15], s[16:17], v[70:71] op_sel:[0,0,1] op_sel_hi:[1,0,0]
	v_pk_fma_f32 v[70:71], v[14:15], s[16:17], v[70:71] op_sel:[0,0,1] op_sel_hi:[1,0,0] neg_lo:[0,0,1] neg_hi:[0,0,1]
	v_pk_add_f32 v[68:69], v[4:5], v[68:69]
	v_mov_b32_e32 v74, v72
	v_mov_b32_e32 v75, v71
	v_pk_add_f32 v[38:39], v[4:5], v[38:39]
	v_pk_add_f32 v[68:69], v[68:69], v[74:75]
	v_pk_mul_f32 v[74:75], v[26:27], s[22:23] op_sel_hi:[1,0]
	v_pk_add_f32 v[18:19], v[38:39], v[18:19]
	v_pk_fma_f32 v[76:77], v[22:23], s[8:9], v[74:75] op_sel:[0,0,1] op_sel_hi:[1,0,0]
	v_pk_fma_f32 v[74:75], v[22:23], s[8:9], v[74:75] op_sel:[0,0,1] op_sel_hi:[1,0,0] neg_lo:[0,0,1] neg_hi:[0,0,1]
	v_pk_add_f32 v[18:19], v[18:19], v[40:41]
	v_mov_b32_e32 v78, v76
	v_mov_b32_e32 v79, v75
	v_pk_add_f32 v[18:19], v[18:19], v[58:59]
	v_pk_add_f32 v[68:69], v[68:69], v[78:79]
	v_pk_mul_f32 v[78:79], v[30:31], s[4:5] op_sel_hi:[1,0]
	v_pk_add_f32 v[18:19], v[18:19], v[20:21]
	;; [unrolled: 9-line block ×3, first 2 shown]
	v_pk_fma_f32 v[84:85], v[56:57], s[10:11], v[82:83] op_sel:[0,0,1] op_sel_hi:[1,0,0]
	v_pk_fma_f32 v[82:83], v[56:57], s[10:11], v[82:83] op_sel:[0,0,1] op_sel_hi:[1,0,0] neg_lo:[0,0,1] neg_hi:[0,0,1]
	v_pk_add_f32 v[8:9], v[24:25], v[8:9]
	v_mov_b32_e32 v86, v84
	v_mov_b32_e32 v87, v83
	v_pk_add_f32 v[6:7], v[6:7], v[8:9]
	v_pk_add_f32 v[68:69], v[68:69], v[86:87]
	global_store_dwordx2 v[2:3], v[6:7], off
	global_store_dwordx2 v[2:3], v[68:69], off offset:1176
	v_pk_mul_f32 v[6:7], v[12:13], s[24:25] op_sel_hi:[1,0]
	v_pk_mul_f32 v[18:19], v[16:17], s[4:5] op_sel_hi:[1,0]
	v_pk_fma_f32 v[8:9], v[0:1], s[16:17], v[6:7] op_sel:[0,0,1] op_sel_hi:[1,0,0]
	v_pk_fma_f32 v[6:7], v[0:1], s[16:17], v[6:7] op_sel:[0,0,1] op_sel_hi:[1,0,0] neg_lo:[0,0,1] neg_hi:[0,0,1]
	v_mov_b32_e32 v10, v8
	v_mov_b32_e32 v11, v7
	v_pk_fma_f32 v[20:21], v[14:15], s[0:1], v[18:19] op_sel:[0,0,1] op_sel_hi:[1,0,0]
	v_pk_fma_f32 v[18:19], v[14:15], s[0:1], v[18:19] op_sel:[0,0,1] op_sel_hi:[1,0,0] neg_lo:[0,0,1] neg_hi:[0,0,1]
	v_pk_add_f32 v[10:11], v[4:5], v[10:11]
	v_mov_b32_e32 v24, v20
	v_mov_b32_e32 v25, v19
	s_mov_b32 s14, 0x3e903f40
	v_pk_add_f32 v[10:11], v[10:11], v[24:25]
	v_pk_mul_f32 v[24:25], v[26:27], s[14:15] op_sel_hi:[1,0]
	v_pk_mul_f32 v[26:27], v[26:27], s[18:19] op_sel_hi:[1,0]
	v_pk_fma_f32 v[34:35], v[22:23], s[10:11], v[24:25] op_sel:[0,0,1] op_sel_hi:[1,0,0]
	v_pk_fma_f32 v[24:25], v[22:23], s[10:11], v[24:25] op_sel:[0,0,1] op_sel_hi:[1,0,0] neg_lo:[0,0,1] neg_hi:[0,0,1]
	v_mov_b32_e32 v38, v34
	v_mov_b32_e32 v39, v25
	v_pk_add_f32 v[10:11], v[10:11], v[38:39]
	v_pk_mul_f32 v[38:39], v[30:31], s[12:13] op_sel_hi:[1,0]
	v_mov_b32_e32 v7, v9
	v_pk_fma_f32 v[40:41], v[28:29], s[8:9], v[38:39] op_sel:[0,0,1] op_sel_hi:[1,0,0]
	v_pk_fma_f32 v[38:39], v[28:29], s[8:9], v[38:39] op_sel:[0,0,1] op_sel_hi:[1,0,0] neg_lo:[0,0,1] neg_hi:[0,0,1]
	v_mov_b32_e32 v58, v40
	v_mov_b32_e32 v59, v39
	v_pk_add_f32 v[10:11], v[10:11], v[58:59]
	v_pk_mul_f32 v[58:59], v[60:61], s[20:21] op_sel_hi:[1,0]
	v_mov_b32_e32 v19, v21
	v_pk_fma_f32 v[68:69], v[56:57], s[2:3], v[58:59] op_sel:[0,0,1] op_sel_hi:[1,0,0]
	v_pk_fma_f32 v[58:59], v[56:57], s[2:3], v[58:59] op_sel:[0,0,1] op_sel_hi:[1,0,0] neg_lo:[0,0,1] neg_hi:[0,0,1]
	v_mov_b32_e32 v86, v68
	v_mov_b32_e32 v87, v59
	v_pk_add_f32 v[10:11], v[10:11], v[86:87]
	global_store_dwordx2 v[2:3], v[10:11], off offset:2352
	v_pk_mul_f32 v[10:11], v[12:13], s[22:23] op_sel_hi:[1,0]
	v_mov_b32_e32 v25, v35
	v_pk_fma_f32 v[12:13], v[0:1], s[8:9], v[10:11] op_sel:[0,0,1] op_sel_hi:[1,0,0]
	v_pk_fma_f32 v[0:1], v[0:1], s[8:9], v[10:11] op_sel:[0,0,1] op_sel_hi:[1,0,0] neg_lo:[0,0,1] neg_hi:[0,0,1]
	v_pk_mul_f32 v[10:11], v[16:17], s[14:15] op_sel_hi:[1,0]
	v_mov_b32_e32 v39, v41
	v_pk_fma_f32 v[16:17], v[14:15], s[10:11], v[10:11] op_sel:[0,0,1] op_sel_hi:[1,0,0]
	v_pk_fma_f32 v[10:11], v[14:15], s[10:11], v[10:11] op_sel:[0,0,1] op_sel_hi:[1,0,0] neg_lo:[0,0,1] neg_hi:[0,0,1]
	v_mov_b32_e32 v14, v12
	v_mov_b32_e32 v15, v1
	v_pk_add_f32 v[14:15], v[4:5], v[14:15]
	v_mov_b32_e32 v86, v16
	v_mov_b32_e32 v87, v11
	v_pk_add_f32 v[14:15], v[14:15], v[86:87]
	v_pk_fma_f32 v[86:87], v[22:23], s[16:17], v[26:27] op_sel:[0,0,1] op_sel_hi:[1,0,0]
	v_pk_fma_f32 v[22:23], v[22:23], s[16:17], v[26:27] op_sel:[0,0,1] op_sel_hi:[1,0,0] neg_lo:[0,0,1] neg_hi:[0,0,1]
	v_mov_b32_e32 v26, v86
	v_mov_b32_e32 v27, v23
	v_pk_add_f32 v[14:15], v[14:15], v[26:27]
	v_pk_mul_f32 v[26:27], v[30:31], s[6:7] op_sel_hi:[1,0]
	v_mov_b32_e32 v1, v13
	v_pk_fma_f32 v[30:31], v[28:29], s[2:3], v[26:27] op_sel:[0,0,1] op_sel_hi:[1,0,0]
	v_pk_fma_f32 v[26:27], v[28:29], s[2:3], v[26:27] op_sel:[0,0,1] op_sel_hi:[1,0,0] neg_lo:[0,0,1] neg_hi:[0,0,1]
	v_mov_b32_e32 v28, v30
	v_mov_b32_e32 v29, v27
	v_pk_add_f32 v[14:15], v[14:15], v[28:29]
	v_pk_mul_f32 v[28:29], v[60:61], s[4:5] op_sel_hi:[1,0]
	v_mov_b32_e32 v11, v17
	v_pk_fma_f32 v[60:61], v[56:57], s[0:1], v[28:29] op_sel:[0,0,1] op_sel_hi:[1,0,0]
	v_pk_fma_f32 v[28:29], v[56:57], s[0:1], v[28:29] op_sel:[0,0,1] op_sel_hi:[1,0,0] neg_lo:[0,0,1] neg_hi:[0,0,1]
	v_pk_add_f32 v[0:1], v[4:5], v[0:1]
	v_mov_b32_e32 v56, v60
	v_mov_b32_e32 v57, v29
	v_pk_add_f32 v[0:1], v[0:1], v[10:11]
	v_mov_b32_e32 v23, v87
	v_pk_add_f32 v[14:15], v[14:15], v[56:57]
	s_movk_i32 s0, 0x2000
	v_pk_add_f32 v[0:1], v[0:1], v[22:23]
	v_mov_b32_e32 v27, v31
	global_store_dwordx2 v[2:3], v[14:15], off offset:3528
	v_add_co_u32_e32 v2, vcc, s0, v2
	v_pk_add_f32 v[0:1], v[0:1], v[26:27]
	v_mov_b32_e32 v29, v61
	v_addc_co_u32_e32 v3, vcc, 0, v3, vcc
	v_pk_add_f32 v[0:1], v[0:1], v[28:29]
	global_store_dwordx2 v[2:3], v[0:1], off offset:1216
	v_pk_add_f32 v[0:1], v[4:5], v[6:7]
	v_mov_b32_e32 v59, v69
	v_pk_add_f32 v[0:1], v[0:1], v[18:19]
	v_mov_b32_e32 v33, v45
	;; [unrolled: 2-line block ×4, first 2 shown]
	v_pk_add_f32 v[0:1], v[0:1], v[58:59]
	v_pk_add_f32 v[14:15], v[4:5], v[32:33]
	global_store_dwordx2 v[2:3], v[0:1], off offset:2392
	v_pk_add_f32 v[0:1], v[4:5], v[48:49]
	v_mov_b32_e32 v71, v73
	v_pk_add_f32 v[14:15], v[14:15], v[36:37]
	v_mov_b32_e32 v43, v51
	;; [unrolled: 2-line block ×7, first 2 shown]
	v_pk_add_f32 v[14:15], v[14:15], v[62:63]
	v_pk_add_f32 v[0:1], v[0:1], v[82:83]
	global_store_dwordx2 v[2:3], v[14:15], off offset:40
	global_store_dwordx2 v[2:3], v[0:1], off offset:3568
	s_endpgm
	.section	.rodata,"a",@progbits
	.p2align	6, 0x0
	.amdhsa_kernel fft_rtc_back_len1617_factors_3_7_7_11_wgs_231_tpt_231_sp_ip_CI_unitstride_sbrr_dirReg
		.amdhsa_group_segment_fixed_size 0
		.amdhsa_private_segment_fixed_size 0
		.amdhsa_kernarg_size 88
		.amdhsa_user_sgpr_count 2
		.amdhsa_user_sgpr_dispatch_ptr 0
		.amdhsa_user_sgpr_queue_ptr 0
		.amdhsa_user_sgpr_kernarg_segment_ptr 1
		.amdhsa_user_sgpr_dispatch_id 0
		.amdhsa_user_sgpr_kernarg_preload_length 0
		.amdhsa_user_sgpr_kernarg_preload_offset 0
		.amdhsa_user_sgpr_private_segment_size 0
		.amdhsa_uses_dynamic_stack 0
		.amdhsa_enable_private_segment 0
		.amdhsa_system_sgpr_workgroup_id_x 1
		.amdhsa_system_sgpr_workgroup_id_y 0
		.amdhsa_system_sgpr_workgroup_id_z 0
		.amdhsa_system_sgpr_workgroup_info 0
		.amdhsa_system_vgpr_workitem_id 0
		.amdhsa_next_free_vgpr 90
		.amdhsa_next_free_sgpr 26
		.amdhsa_accum_offset 92
		.amdhsa_reserve_vcc 1
		.amdhsa_float_round_mode_32 0
		.amdhsa_float_round_mode_16_64 0
		.amdhsa_float_denorm_mode_32 3
		.amdhsa_float_denorm_mode_16_64 3
		.amdhsa_dx10_clamp 1
		.amdhsa_ieee_mode 1
		.amdhsa_fp16_overflow 0
		.amdhsa_tg_split 0
		.amdhsa_exception_fp_ieee_invalid_op 0
		.amdhsa_exception_fp_denorm_src 0
		.amdhsa_exception_fp_ieee_div_zero 0
		.amdhsa_exception_fp_ieee_overflow 0
		.amdhsa_exception_fp_ieee_underflow 0
		.amdhsa_exception_fp_ieee_inexact 0
		.amdhsa_exception_int_div_zero 0
	.end_amdhsa_kernel
	.text
.Lfunc_end0:
	.size	fft_rtc_back_len1617_factors_3_7_7_11_wgs_231_tpt_231_sp_ip_CI_unitstride_sbrr_dirReg, .Lfunc_end0-fft_rtc_back_len1617_factors_3_7_7_11_wgs_231_tpt_231_sp_ip_CI_unitstride_sbrr_dirReg
                                        ; -- End function
	.section	.AMDGPU.csdata,"",@progbits
; Kernel info:
; codeLenInByte = 5880
; NumSgprs: 32
; NumVgprs: 90
; NumAgprs: 0
; TotalNumVgprs: 90
; ScratchSize: 0
; MemoryBound: 0
; FloatMode: 240
; IeeeMode: 1
; LDSByteSize: 0 bytes/workgroup (compile time only)
; SGPRBlocks: 3
; VGPRBlocks: 11
; NumSGPRsForWavesPerEU: 32
; NumVGPRsForWavesPerEU: 90
; AccumOffset: 92
; Occupancy: 5
; WaveLimiterHint : 1
; COMPUTE_PGM_RSRC2:SCRATCH_EN: 0
; COMPUTE_PGM_RSRC2:USER_SGPR: 2
; COMPUTE_PGM_RSRC2:TRAP_HANDLER: 0
; COMPUTE_PGM_RSRC2:TGID_X_EN: 1
; COMPUTE_PGM_RSRC2:TGID_Y_EN: 0
; COMPUTE_PGM_RSRC2:TGID_Z_EN: 0
; COMPUTE_PGM_RSRC2:TIDIG_COMP_CNT: 0
; COMPUTE_PGM_RSRC3_GFX90A:ACCUM_OFFSET: 22
; COMPUTE_PGM_RSRC3_GFX90A:TG_SPLIT: 0
	.text
	.p2alignl 6, 3212836864
	.fill 256, 4, 3212836864
	.type	__hip_cuid_c39c20eebd495e56,@object ; @__hip_cuid_c39c20eebd495e56
	.section	.bss,"aw",@nobits
	.globl	__hip_cuid_c39c20eebd495e56
__hip_cuid_c39c20eebd495e56:
	.byte	0                               ; 0x0
	.size	__hip_cuid_c39c20eebd495e56, 1

	.ident	"AMD clang version 19.0.0git (https://github.com/RadeonOpenCompute/llvm-project roc-6.4.0 25133 c7fe45cf4b819c5991fe208aaa96edf142730f1d)"
	.section	".note.GNU-stack","",@progbits
	.addrsig
	.addrsig_sym __hip_cuid_c39c20eebd495e56
	.amdgpu_metadata
---
amdhsa.kernels:
  - .agpr_count:     0
    .args:
      - .actual_access:  read_only
        .address_space:  global
        .offset:         0
        .size:           8
        .value_kind:     global_buffer
      - .offset:         8
        .size:           8
        .value_kind:     by_value
      - .actual_access:  read_only
        .address_space:  global
        .offset:         16
        .size:           8
        .value_kind:     global_buffer
      - .actual_access:  read_only
        .address_space:  global
        .offset:         24
        .size:           8
        .value_kind:     global_buffer
      - .offset:         32
        .size:           8
        .value_kind:     by_value
      - .actual_access:  read_only
        .address_space:  global
        .offset:         40
        .size:           8
        .value_kind:     global_buffer
      - .actual_access:  read_only
        .address_space:  global
        .offset:         48
        .size:           8
        .value_kind:     global_buffer
      - .offset:         56
        .size:           4
        .value_kind:     by_value
      - .actual_access:  read_only
        .address_space:  global
        .offset:         64
        .size:           8
        .value_kind:     global_buffer
      - .actual_access:  read_only
        .address_space:  global
        .offset:         72
        .size:           8
        .value_kind:     global_buffer
      - .address_space:  global
        .offset:         80
        .size:           8
        .value_kind:     global_buffer
    .group_segment_fixed_size: 0
    .kernarg_segment_align: 8
    .kernarg_segment_size: 88
    .language:       OpenCL C
    .language_version:
      - 2
      - 0
    .max_flat_workgroup_size: 231
    .name:           fft_rtc_back_len1617_factors_3_7_7_11_wgs_231_tpt_231_sp_ip_CI_unitstride_sbrr_dirReg
    .private_segment_fixed_size: 0
    .sgpr_count:     32
    .sgpr_spill_count: 0
    .symbol:         fft_rtc_back_len1617_factors_3_7_7_11_wgs_231_tpt_231_sp_ip_CI_unitstride_sbrr_dirReg.kd
    .uniform_work_group_size: 1
    .uses_dynamic_stack: false
    .vgpr_count:     90
    .vgpr_spill_count: 0
    .wavefront_size: 64
amdhsa.target:   amdgcn-amd-amdhsa--gfx950
amdhsa.version:
  - 1
  - 2
...

	.end_amdgpu_metadata
